;; amdgpu-corpus repo=zjin-lcf/HeCBench kind=compiled arch=gfx906 opt=O3
	.amdgcn_target "amdgcn-amd-amdhsa--gfx906"
	.amdhsa_code_object_version 6
	.text
	.protected	_Z22FP8TrtAddQKVBiasKernel21FP8TrtAddQKVBiasParamI19__hip_fp8_e4m3_fnuz14__hip_bfloat16E ; -- Begin function _Z22FP8TrtAddQKVBiasKernel21FP8TrtAddQKVBiasParamI19__hip_fp8_e4m3_fnuz14__hip_bfloat16E
	.globl	_Z22FP8TrtAddQKVBiasKernel21FP8TrtAddQKVBiasParamI19__hip_fp8_e4m3_fnuz14__hip_bfloat16E
	.p2align	8
	.type	_Z22FP8TrtAddQKVBiasKernel21FP8TrtAddQKVBiasParamI19__hip_fp8_e4m3_fnuz14__hip_bfloat16E,@function
_Z22FP8TrtAddQKVBiasKernel21FP8TrtAddQKVBiasParamI19__hip_fp8_e4m3_fnuz14__hip_bfloat16E: ; @_Z22FP8TrtAddQKVBiasKernel21FP8TrtAddQKVBiasParamI19__hip_fp8_e4m3_fnuz14__hip_bfloat16E
; %bb.0:
	s_load_dwordx2 s[0:1], s[4:5], 0x30
	s_load_dwordx8 s[8:15], s[4:5], 0x0
	s_waitcnt lgkmcnt(0)
	s_mul_i32 s2, s6, s1
	s_mul_i32 s16, s2, 3
	s_add_u32 s2, s10, s16
	s_addc_u32 s3, s11, 0
	s_ashr_i32 s6, s0, 31
	s_ashr_i32 s7, s1, 31
	s_lshr_b32 s6, s6, 30
	s_lshr_b32 s7, s7, 30
	s_add_i32 s0, s0, s6
	s_ashr_i32 s17, s0, 2
	s_add_i32 s0, s1, s7
	s_ashr_i32 s0, s0, 2
	v_mul_lo_u32 v3, s0, v2
	v_mul_lo_u32 v4, s17, v1
	v_mov_b32_e32 v6, s3
	s_movk_i32 s0, 0x7f
	s_mov_b64 s[6:7], 0
	v_add3_u32 v3, v4, v0, v3
	v_ashrrev_i32_e32 v4, 31, v3
	v_lshlrev_b64 v[4:5], 2, v[3:4]
	v_add_co_u32_e32 v4, vcc, s2, v4
	v_addc_co_u32_e32 v5, vcc, v6, v5, vcc
	global_load_dword v4, v[4:5], off
	s_waitcnt vmcnt(0)
	v_cmp_gt_i16_sdwa s[0:1], v4, s0 src0_sel:BYTE_0 src1_sel:DWORD
	s_and_saveexec_b64 s[2:3], s[0:1]
	s_xor_b64 s[0:1], exec, s[2:3]
	s_cbranch_execz .LBB0_4
; %bb.1:
	s_movk_i32 s2, 0x80
	v_cmp_eq_u16_sdwa s[10:11], v4, s2 src0_sel:BYTE_0 src1_sel:DWORD
	s_mov_b64 s[2:3], -1
	s_and_saveexec_b64 s[6:7], s[10:11]
; %bb.2:
	s_xor_b64 s[2:3], exec, -1
; %bb.3:
	s_or_b64 exec, exec, s[6:7]
	s_and_b64 s[6:7], s[2:3], exec
.LBB0_4:
	s_or_saveexec_b64 s[2:3], s[0:1]
	s_load_dwordx2 s[0:1], s[4:5], 0x20
	v_mov_b32_e32 v13, 0x7fc0
	s_xor_b64 exec, exec, s[2:3]
; %bb.5:
	v_mov_b32_e32 v13, 0
	v_cmp_ne_u16_sdwa s[4:5], v4, v13 src0_sel:BYTE_0 src1_sel:DWORD
	s_andn2_b64 s[6:7], s[6:7], exec
	s_and_b64 s[4:5], s[4:5], exec
	s_or_b64 s[6:7], s[6:7], s[4:5]
; %bb.6:
	s_or_b64 exec, exec, s[2:3]
	s_and_saveexec_b64 s[2:3], s[6:7]
	s_cbranch_execz .LBB0_8
; %bb.7:
	v_and_b32_e32 v7, 7, v4
	v_ffbh_u32_e32 v5, v7
	v_min_u32_e32 v9, 32, v5
	v_subrev_u32_e32 v5, 28, v9
	v_lshlrev_b64 v[5:6], v5, v[4:5]
	v_bfe_u32 v8, v4, 3, 4
	v_sub_u32_e32 v6, 29, v9
	v_and_b32_e32 v5, 7, v5
	v_cmp_eq_u32_e32 vcc, 0, v8
	v_cndmask_b32_e32 v6, v8, v6, vcc
	v_cndmask_b32_e32 v5, v7, v5, vcc
	v_lshlrev_b32_e32 v7, 24, v4
	v_mov_b32_e32 v8, 0x3b800000
	v_lshlrev_b32_e32 v5, 20, v5
	v_and_b32_e32 v7, 0x80000000, v7
	v_lshl_add_u32 v6, v6, 23, v8
	v_or3_b32 v5, v7, v6, v5
	v_mov_b32_e32 v6, 0x7fff
	v_mov_b32_e32 v7, 0x400000
	v_cmp_u_f32_e32 vcc, v5, v5
	v_cndmask_b32_e32 v6, v6, v7, vcc
	v_or_b32_e32 v5, v5, v6
	v_lshrrev_b32_e32 v13, 16, v5
.LBB0_8:
	s_or_b64 exec, exec, s[2:3]
	v_lshrrev_b32_e32 v5, 8, v4
	s_movk_i32 s2, 0x7f
	v_cmp_gt_i16_sdwa s[2:3], v5, s2 src0_sel:BYTE_0 src1_sel:DWORD
	s_mov_b64 s[4:5], 0
	s_and_saveexec_b64 s[6:7], s[2:3]
	s_xor_b64 s[2:3], exec, s[6:7]
	s_cbranch_execnz .LBB0_77
; %bb.9:
	s_or_saveexec_b64 s[2:3], s[2:3]
	v_mov_b32_e32 v14, 0x7fc0
	s_xor_b64 exec, exec, s[2:3]
	s_cbranch_execnz .LBB0_80
.LBB0_10:
	s_or_b64 exec, exec, s[2:3]
	s_and_saveexec_b64 s[2:3], s[4:5]
	s_cbranch_execz .LBB0_12
.LBB0_11:
	v_bfe_u32 v8, v4, 8, 3
	v_ffbh_u32_e32 v6, v8
	v_min_u32_e32 v10, 32, v6
	v_subrev_u32_e32 v6, 28, v10
	v_lshlrev_b64 v[6:7], v6, v[5:6]
	v_bfe_u32 v9, v4, 11, 4
	v_sub_u32_e32 v7, 29, v10
	v_and_b32_e32 v6, 7, v6
	v_cmp_eq_u32_e32 vcc, 0, v9
	v_cndmask_b32_e32 v7, v9, v7, vcc
	v_cndmask_b32_e32 v6, v8, v6, vcc
	v_lshlrev_b32_e32 v5, 24, v5
	v_mov_b32_e32 v8, 0x3b800000
	v_lshlrev_b32_e32 v6, 20, v6
	v_and_b32_e32 v5, 0x80000000, v5
	v_lshl_add_u32 v7, v7, 23, v8
	v_or3_b32 v5, v5, v7, v6
	v_mov_b32_e32 v6, 0x7fff
	v_mov_b32_e32 v7, 0x400000
	v_cmp_u_f32_e32 vcc, v5, v5
	v_cndmask_b32_e32 v6, v6, v7, vcc
	v_or_b32_e32 v5, v5, v6
	v_lshrrev_b32_e32 v14, 16, v5
.LBB0_12:
	s_or_b64 exec, exec, s[2:3]
	s_movk_i32 s2, 0xff
	v_and_b32_sdwa v6, v4, s2 dst_sel:DWORD dst_unused:UNUSED_PAD src0_sel:WORD_1 src1_sel:DWORD
	s_movk_i32 s2, 0x7f
	v_lshrrev_b32_e32 v5, 16, v4
	v_cmp_lt_i16_e32 vcc, s2, v6
	s_mov_b64 s[2:3], 0
	s_and_saveexec_b64 s[4:5], vcc
	s_xor_b64 s[4:5], exec, s[4:5]
	s_cbranch_execnz .LBB0_81
; %bb.13:
	s_or_saveexec_b64 s[4:5], s[4:5]
	v_mov_b32_e32 v7, 0x7fc0
	s_xor_b64 exec, exec, s[4:5]
	s_cbranch_execnz .LBB0_84
.LBB0_14:
	s_or_b64 exec, exec, s[4:5]
	s_and_saveexec_b64 s[4:5], s[2:3]
	s_cbranch_execz .LBB0_16
.LBB0_15:
	v_bfe_u32 v7, v4, 16, 3
	v_ffbh_u32_e32 v6, v7
	v_min_u32_e32 v9, 32, v6
	v_subrev_u32_e32 v6, 28, v9
	v_lshlrev_b64 v[5:6], v6, v[5:6]
	v_bfe_u32 v8, v4, 19, 4
	v_and_b32_e32 v5, 7, v5
	v_cmp_eq_u32_e32 vcc, 0, v8
	v_sub_u32_e32 v6, 29, v9
	v_cndmask_b32_e32 v5, v7, v5, vcc
	v_mov_b32_e32 v7, 24
	v_cndmask_b32_e32 v6, v8, v6, vcc
	v_lshlrev_b32_sdwa v7, v7, v4 dst_sel:DWORD dst_unused:UNUSED_PAD src0_sel:DWORD src1_sel:WORD_1
	v_mov_b32_e32 v8, 0x3b800000
	v_lshlrev_b32_e32 v5, 20, v5
	v_and_b32_e32 v7, 0x80000000, v7
	v_lshl_add_u32 v6, v6, 23, v8
	v_or3_b32 v5, v7, v6, v5
	v_mov_b32_e32 v6, 0x7fff
	v_mov_b32_e32 v7, 0x400000
	v_cmp_u_f32_e32 vcc, v5, v5
	v_cndmask_b32_e32 v6, v6, v7, vcc
	v_or_b32_e32 v5, v5, v6
	v_lshrrev_b32_e32 v7, 16, v5
.LBB0_16:
	s_or_b64 exec, exec, s[4:5]
	s_movk_i32 s2, 0x7f
	v_lshrrev_b32_e32 v5, 24, v4
	v_cmp_gt_i16_sdwa s[2:3], v4, s2 src0_sel:BYTE_3 src1_sel:DWORD
	s_mov_b64 s[4:5], 0
	s_and_saveexec_b64 s[6:7], s[2:3]
	s_xor_b64 s[2:3], exec, s[6:7]
	s_cbranch_execnz .LBB0_85
; %bb.17:
	s_or_saveexec_b64 s[2:3], s[2:3]
	v_mov_b32_e32 v8, 0x7fc0
	s_xor_b64 exec, exec, s[2:3]
	s_cbranch_execnz .LBB0_88
.LBB0_18:
	s_or_b64 exec, exec, s[2:3]
	s_and_saveexec_b64 s[2:3], s[4:5]
	s_cbranch_execz .LBB0_20
.LBB0_19:
	v_bfe_u32 v8, v4, 24, 3
	v_ffbh_u32_e32 v6, v8
	v_min_u32_e32 v10, 32, v6
	v_subrev_u32_e32 v6, 28, v10
	v_lshlrev_b64 v[5:6], v6, v[5:6]
	v_bfe_u32 v9, v4, 27, 4
	v_and_b32_e32 v5, 7, v5
	v_cmp_eq_u32_e32 vcc, 0, v9
	v_sub_u32_e32 v6, 29, v10
	v_cndmask_b32_e32 v5, v8, v5, vcc
	v_mov_b32_e32 v8, 24
	v_cndmask_b32_e32 v6, v9, v6, vcc
	v_lshlrev_b32_sdwa v4, v8, v4 dst_sel:DWORD dst_unused:UNUSED_PAD src0_sel:DWORD src1_sel:BYTE_3
	v_mov_b32_e32 v8, 0x3b800000
	v_lshlrev_b32_e32 v5, 20, v5
	v_and_b32_e32 v4, 0x80000000, v4
	v_lshl_add_u32 v6, v6, 23, v8
	v_or3_b32 v4, v4, v6, v5
	v_mov_b32_e32 v5, 0x7fff
	v_mov_b32_e32 v6, 0x400000
	v_cmp_u_f32_e32 vcc, v4, v4
	v_cndmask_b32_e32 v5, v5, v6, vcc
	v_or_b32_e32 v4, v4, v5
	v_lshrrev_b32_e32 v8, 16, v4
.LBB0_20:
	s_or_b64 exec, exec, s[2:3]
	v_lshlrev_b32_e32 v3, 1, v3
	v_ashrrev_i32_e32 v4, 31, v3
	v_lshlrev_b64 v[3:4], 2, v[3:4]
	v_mov_b32_e32 v5, s13
	v_add_co_u32_e32 v3, vcc, s12, v3
	v_addc_co_u32_e32 v4, vcc, v5, v4, vcc
	global_load_dwordx2 v[5:6], v[3:4], off
	s_load_dword s6, s[14:15], 0x0
	s_waitcnt lgkmcnt(0)
	s_load_dword s10, s[0:1], 0x0
	v_lshlrev_b32_e32 v3, 16, v8
	v_lshlrev_b32_e32 v4, 16, v7
	s_movk_i32 s7, 0x7fff
	s_bfe_u32 s12, s6, 0x10010
	s_or_b32 s13, s6, 0x400000
	v_cmp_u_f32_e64 s[0:1], s6, s6
	s_add_i32 s6, s12, s6
	s_addk_i32 s6, 0x7fff
	s_and_b64 s[0:1], s[0:1], exec
	s_cselect_b32 s6, s13, s6
	s_waitcnt lgkmcnt(0)
	s_bfe_u32 s0, s10, 0x10010
	s_add_i32 s0, s0, s10
	v_cmp_u_f32_e64 s[4:5], s10, s10
	s_or_b32 s12, s10, 0x400000
	s_lshr_b32 s15, s6, 16
	s_add_i32 s10, s0, 0x7fff
	s_and_b64 s[0:1], s[4:5], exec
	s_cselect_b32 s0, s12, s10
	s_and_b32 s1, s6, 0xffff0000
	s_lshr_b32 s14, s0, 16
	s_and_b32 s0, s0, 0xffff0000
	v_mov_b32_e32 v7, 0
	s_mov_b64 s[2:3], 0x7f800000
	s_mov_b32 s11, 0x7060302
	v_mov_b32_e32 v15, 0x80
	s_waitcnt vmcnt(0)
	v_and_b32_e32 v8, 0xffff0000, v6
	v_lshlrev_b32_e32 v6, 16, v6
	v_fmac_f32_e32 v8, s1, v3
	v_fmac_f32_e32 v6, s1, v4
	v_bfe_u32 v3, v8, 16, 1
	v_or_b32_e32 v4, 0x400000, v8
	v_bfe_u32 v9, v6, 16, 1
	v_add3_u32 v3, v3, v8, s7
	v_cmp_u_f32_e32 vcc, v8, v8
	v_or_b32_e32 v10, 0x400000, v6
	v_add3_u32 v9, v9, v6, s7
	v_cndmask_b32_e32 v3, v3, v4, vcc
	v_cmp_u_f32_e32 vcc, v6, v6
	v_cndmask_b32_e32 v4, v9, v10, vcc
	v_and_b32_e32 v4, 0xffff0000, v4
	v_and_b32_e32 v3, 0xffff0000, v3
	v_mul_f32_e32 v4, s0, v4
	v_mul_f32_e32 v3, s0, v3
	v_bfe_u32 v6, v4, 16, 1
	v_or_b32_e32 v8, 0x400000, v4
	v_bfe_u32 v9, v3, 16, 1
	v_add3_u32 v6, v6, v4, s7
	v_cmp_u_f32_e32 vcc, v4, v4
	v_or_b32_e32 v10, 0x400000, v3
	v_add3_u32 v9, v9, v3, s7
	v_cndmask_b32_e32 v4, v6, v8, vcc
	v_cmp_u_f32_e32 vcc, v3, v3
	v_cndmask_b32_e32 v8, v9, v10, vcc
	v_and_b32_e32 v6, 0x7f800000, v8
	v_cmp_ne_u64_e32 vcc, s[2:3], v[6:7]
	v_perm_b32 v3, v8, v4, s11
	v_mov_b32_e32 v4, 0x80
	s_and_saveexec_b64 s[4:5], vcc
	s_cbranch_execz .LBB0_34
; %bb.21:
	v_and_b32_e32 v16, 0xffff0000, v8
	v_and_b32_e32 v6, 0x7fffffff, v16
	s_mov_b64 s[0:1], 0x43700001
	v_cmp_gt_u64_e32 vcc, s[0:1], v[6:7]
                                        ; implicit-def: $vgpr15
	s_and_saveexec_b64 s[0:1], vcc
	s_xor_b64 s[6:7], exec, s[0:1]
	s_cbranch_execz .LBB0_31
; %bb.22:
	v_mov_b32_e32 v15, 0
	v_cmp_ne_u32_e32 vcc, 0, v16
	s_and_saveexec_b64 s[10:11], vcc
	s_cbranch_execz .LBB0_30
; %bb.23:
	v_bfe_u32 v6, v16, 23, 8
	s_movk_i32 s0, 0x79
	v_sub_u32_e32 v9, 0x78, v6
	v_cmp_gt_u32_e32 vcc, s0, v6
	v_cndmask_b32_e32 v9, 0, v9, vcc
	v_mov_b32_e32 v11, 0x77
	v_cmp_eq_u32_e32 vcc, 0, v6
	v_and_b32_e32 v8, 0x7fffff, v16
	v_cndmask_b32_e32 v15, v9, v11, vcc
	v_or_b32_e32 v10, 0x800000, v8
	v_add_u32_e32 v9, 20, v15
	v_cndmask_b32_e32 v8, v10, v8, vcc
	v_lshlrev_b64 v[10:11], v9, -1
	v_mov_b32_e32 v9, 0
	v_bfi_b32 v17, v10, 0, v8
	v_add_u32_e32 v10, 19, v15
	v_bfi_b32 v18, v11, 0, 0
	v_lshlrev_b64 v[19:20], v10, 1
	v_lshrrev_b64 v[10:11], v15, v[8:9]
	v_cmp_eq_u64_e64 s[0:1], v[17:18], v[19:20]
	v_mov_b32_e32 v12, v11
	v_mov_b32_e32 v11, v10
	s_and_saveexec_b64 s[12:13], s[0:1]
; %bb.24:
	v_bfe_u32 v8, v10, 20, 1
	v_add_co_u32_e64 v8, s[0:1], v10, v8
	v_add_co_u32_e64 v11, s[0:1], -1, v8
; %bb.25:
	s_or_b64 exec, exec, s[12:13]
	v_add_u32_e32 v6, 0xffffff81, v6
	v_mov_b32_e32 v8, 0xffffff82
	v_cndmask_b32_e32 v6, v6, v8, vcc
	v_lshrrev_b32_e32 v8, 23, v10
	v_add3_u32 v15, v15, v6, v8
	v_add_u32_e32 v12, 7, v15
	v_and_b32_e32 v6, 0xfffff, v11
	v_add_u32_e32 v8, v6, v10
	v_cmp_ne_u32_e32 vcc, 0, v12
                                        ; implicit-def: $vgpr6
	s_and_saveexec_b64 s[0:1], vcc
	s_xor_b64 s[0:1], exec, s[0:1]
; %bb.26:
	s_mov_b64 s[12:13], 0xffffff
	v_cmp_lt_u64_e32 vcc, s[12:13], v[8:9]
	v_add_u32_e32 v6, 8, v15
	v_cndmask_b32_e64 v10, 0, 1, vcc
	v_cndmask_b32_e32 v6, v12, v6, vcc
	v_lshrrev_b64 v[8:9], v10, v[8:9]
; %bb.27:
	s_andn2_saveexec_b64 s[0:1], s[0:1]
; %bb.28:
	v_bfe_u32 v6, v8, 23, 1
; %bb.29:
	s_or_b64 exec, exec, s[0:1]
	v_lshrrev_b64 v[8:9], 20, v[8:9]
	v_cmp_gt_i32_e32 vcc, 16, v6
	s_movk_i32 s0, 0x80
	v_min_i32_e32 v11, 15, v6
	v_cndmask_b32_e32 v9, 0, v9, vcc
	v_cndmask_b32_e32 v8, 7, v8, vcc
	v_and_b32_sdwa v10, v16, s0 dst_sel:DWORD dst_unused:UNUSED_PAD src0_sel:BYTE_3 src1_sel:DWORD
	v_cmp_eq_u32_e32 vcc, 0, v6
	v_cmp_eq_u64_e64 s[0:1], 0, v[8:9]
	v_lshlrev_b32_e32 v6, 3, v11
	v_and_b32_e32 v8, 7, v8
	v_and_b32_e32 v6, 0xf8, v6
	v_or3_b32 v6, v6, v10, v8
	s_and_b64 s[0:1], vcc, s[0:1]
	v_cndmask_b32_e64 v15, v6, 0, s[0:1]
.LBB0_30:
	s_or_b64 exec, exec, s[10:11]
                                        ; implicit-def: $vgpr16
.LBB0_31:
	s_andn2_saveexec_b64 s[0:1], s[6:7]
; %bb.32:
	s_movk_i32 s6, 0x7f
	v_or_b32_sdwa v15, v16, s6 dst_sel:DWORD dst_unused:UNUSED_PAD src0_sel:BYTE_3 src1_sel:DWORD
; %bb.33:
	s_or_b64 exec, exec, s[0:1]
.LBB0_34:
	s_or_b64 exec, exec, s[4:5]
	v_lshlrev_b32_e32 v9, 16, v3
	v_and_b32_e32 v6, 0x7f800000, v9
	v_cmp_ne_u64_e32 vcc, s[2:3], v[6:7]
	s_pack_ll_b32_b16 s13, s15, s15
	s_pack_ll_b32_b16 s12, s14, s14
	s_and_saveexec_b64 s[2:3], vcc
	s_cbranch_execz .LBB0_48
; %bb.35:
	v_and_b32_e32 v3, 0x7fffffff, v9
	v_mov_b32_e32 v4, 0
	s_mov_b64 s[0:1], 0x43700001
	v_cmp_gt_u64_e32 vcc, s[0:1], v[3:4]
	s_and_saveexec_b64 s[0:1], vcc
	s_xor_b64 s[4:5], exec, s[0:1]
	s_cbranch_execz .LBB0_45
; %bb.36:
	v_cmp_ne_u32_e32 vcc, 0, v9
	s_and_saveexec_b64 s[6:7], vcc
	s_cbranch_execz .LBB0_44
; %bb.37:
	v_bfe_u32 v10, v9, 23, 8
	s_movk_i32 s0, 0x79
	v_sub_u32_e32 v4, 0x78, v10
	v_cmp_gt_u32_e32 vcc, s0, v10
	v_cndmask_b32_e32 v4, 0, v4, vcc
	v_mov_b32_e32 v7, 0x77
	v_cmp_eq_u32_e32 vcc, 0, v10
	v_and_b32_e32 v3, 0x7fffff, v9
	v_cndmask_b32_e32 v11, v4, v7, vcc
	v_or_b32_e32 v6, 0x800000, v3
	v_add_u32_e32 v4, 20, v11
	v_cndmask_b32_e32 v3, v6, v3, vcc
	v_lshlrev_b64 v[6:7], v4, -1
	v_mov_b32_e32 v4, 0
	v_bfi_b32 v16, v6, 0, v3
	v_add_u32_e32 v6, 19, v11
	v_bfi_b32 v17, v7, 0, 0
	v_lshlrev_b64 v[18:19], v6, 1
	v_lshrrev_b64 v[6:7], v11, v[3:4]
	v_cmp_eq_u64_e64 s[0:1], v[16:17], v[18:19]
	v_mov_b32_e32 v8, v7
	v_mov_b32_e32 v7, v6
	s_and_saveexec_b64 s[10:11], s[0:1]
; %bb.38:
	v_bfe_u32 v3, v6, 20, 1
	v_add_co_u32_e64 v3, s[0:1], v6, v3
	v_add_co_u32_e64 v7, s[0:1], -1, v3
; %bb.39:
	s_or_b64 exec, exec, s[10:11]
	v_add_u32_e32 v3, 0xffffff81, v10
	v_mov_b32_e32 v8, 0xffffff82
	v_cndmask_b32_e32 v3, v3, v8, vcc
	v_lshrrev_b32_e32 v8, 23, v6
	v_add3_u32 v10, v11, v3, v8
	v_add_u32_e32 v8, 7, v10
	v_and_b32_e32 v3, 0xfffff, v7
	v_add_u32_e32 v3, v3, v6
	v_cmp_ne_u32_e32 vcc, 0, v8
                                        ; implicit-def: $vgpr6
	s_and_saveexec_b64 s[0:1], vcc
	s_xor_b64 s[0:1], exec, s[0:1]
; %bb.40:
	s_mov_b64 s[10:11], 0xffffff
	v_cmp_lt_u64_e32 vcc, s[10:11], v[3:4]
	v_add_u32_e32 v6, 8, v10
	v_cndmask_b32_e64 v7, 0, 1, vcc
	v_cndmask_b32_e32 v6, v8, v6, vcc
	v_lshrrev_b64 v[3:4], v7, v[3:4]
; %bb.41:
	s_andn2_saveexec_b64 s[0:1], s[0:1]
; %bb.42:
	v_bfe_u32 v6, v3, 23, 1
; %bb.43:
	s_or_b64 exec, exec, s[0:1]
	v_lshrrev_b64 v[3:4], 20, v[3:4]
	v_cmp_gt_i32_e32 vcc, 16, v6
	s_movk_i32 s0, 0x80
	v_min_i32_e32 v8, 15, v6
	v_cndmask_b32_e32 v4, 0, v4, vcc
	v_cndmask_b32_e32 v3, 7, v3, vcc
	v_and_b32_sdwa v7, v9, s0 dst_sel:DWORD dst_unused:UNUSED_PAD src0_sel:BYTE_3 src1_sel:DWORD
	v_cmp_eq_u64_e64 s[0:1], 0, v[3:4]
	v_lshlrev_b32_e32 v4, 3, v8
	v_cmp_eq_u32_e32 vcc, 0, v6
	v_and_b32_e32 v3, 7, v3
	v_and_b32_e32 v4, 0xf8, v4
	v_or3_b32 v3, v4, v7, v3
	s_and_b64 s[0:1], vcc, s[0:1]
	v_cndmask_b32_e64 v4, v3, 0, s[0:1]
.LBB0_44:
	s_or_b64 exec, exec, s[6:7]
                                        ; implicit-def: $vgpr9
.LBB0_45:
	s_andn2_saveexec_b64 s[0:1], s[4:5]
; %bb.46:
	s_movk_i32 s4, 0x7f
	v_or_b32_sdwa v4, v9, s4 dst_sel:DWORD dst_unused:UNUSED_PAD src0_sel:BYTE_3 src1_sel:DWORD
; %bb.47:
	s_or_b64 exec, exec, s[0:1]
.LBB0_48:
	s_or_b64 exec, exec, s[2:3]
	s_and_b32 s0, s13, 0xffff0000
	v_and_b32_e32 v3, 0xffff0000, v5
	v_lshlrev_b32_e32 v6, 16, v14
	v_fmac_f32_e32 v3, s0, v6
	v_bfe_u32 v6, v3, 16, 1
	s_movk_i32 s0, 0x7fff
	v_add3_u32 v6, v6, v3, s0
	v_or_b32_e32 v7, 0x400000, v3
	v_cmp_u_f32_e32 vcc, v3, v3
	v_cndmask_b32_e32 v3, v6, v7, vcc
	s_lshl_b32 s1, s13, 16
	v_lshlrev_b32_e32 v5, 16, v5
	v_lshlrev_b32_e32 v6, 16, v13
	v_fmac_f32_e32 v5, s1, v6
	v_bfe_u32 v6, v5, 16, 1
	v_add3_u32 v6, v6, v5, s0
	v_or_b32_e32 v7, 0x400000, v5
	v_cmp_u_f32_e32 vcc, v5, v5
	v_cndmask_b32_e32 v5, v6, v7, vcc
	v_and_b32_e32 v5, 0xffff0000, v5
	s_lshl_b32 s1, s12, 16
	v_mul_f32_e32 v5, s1, v5
	v_bfe_u32 v6, v5, 16, 1
	v_and_b32_e32 v3, 0xffff0000, v3
	s_and_b32 s1, s12, 0xffff0000
	v_add3_u32 v6, v6, v5, s0
	v_or_b32_e32 v7, 0x400000, v5
	v_cmp_u_f32_e32 vcc, v5, v5
	v_mul_f32_e32 v3, s1, v3
	v_cndmask_b32_e32 v5, v6, v7, vcc
	v_bfe_u32 v6, v3, 16, 1
	v_add3_u32 v6, v6, v3, s0
	v_or_b32_e32 v7, 0x400000, v3
	v_cmp_u_f32_e32 vcc, v3, v3
	v_cndmask_b32_e32 v9, v6, v7, vcc
	v_mov_b32_e32 v8, 0
	v_and_b32_e32 v7, 0x7f800000, v9
	s_mov_b64 s[2:3], 0x7f800000
	s_mov_b32 s0, 0x7060302
	v_cmp_ne_u64_e32 vcc, s[2:3], v[7:8]
	v_perm_b32 v5, v9, v5, s0
	v_mov_b32_e32 v6, 0x80
	v_mov_b32_e32 v3, 0x80
	s_and_saveexec_b64 s[4:5], vcc
	s_cbranch_execz .LBB0_62
; %bb.49:
	v_and_b32_e32 v14, 0xffff0000, v9
	v_and_b32_e32 v7, 0x7fffffff, v14
	s_mov_b64 s[0:1], 0x43700001
	v_cmp_gt_u64_e32 vcc, s[0:1], v[7:8]
                                        ; implicit-def: $vgpr3
	s_and_saveexec_b64 s[0:1], vcc
	s_xor_b64 s[6:7], exec, s[0:1]
	s_cbranch_execz .LBB0_59
; %bb.50:
	v_mov_b32_e32 v3, 0
	v_cmp_ne_u32_e32 vcc, 0, v14
	s_and_saveexec_b64 s[10:11], vcc
	s_cbranch_execz .LBB0_58
; %bb.51:
	v_bfe_u32 v3, v14, 23, 8
	s_movk_i32 s0, 0x79
	v_sub_u32_e32 v7, 0x78, v3
	v_cmp_gt_u32_e32 vcc, s0, v3
	v_and_b32_e32 v9, 0x7fffff, v14
	v_cndmask_b32_e32 v7, 0, v7, vcc
	v_mov_b32_e32 v11, 0x77
	v_cmp_eq_u32_e32 vcc, 0, v3
	v_or_b32_e32 v10, 0x800000, v9
	v_cndmask_b32_e32 v7, v7, v11, vcc
	v_cndmask_b32_e32 v9, v10, v9, vcc
	v_add_u32_e32 v10, 20, v7
	v_lshlrev_b64 v[11:12], v10, -1
	v_mov_b32_e32 v10, 0
	v_bfi_b32 v16, v11, 0, v9
	v_add_u32_e32 v11, 19, v7
	v_bfi_b32 v17, v12, 0, 0
	v_lshlrev_b64 v[18:19], v11, 1
	v_lshrrev_b64 v[11:12], v7, v[9:10]
	v_cmp_eq_u64_e64 s[0:1], v[16:17], v[18:19]
	v_mov_b32_e32 v13, v12
	v_mov_b32_e32 v12, v11
	s_and_saveexec_b64 s[12:13], s[0:1]
; %bb.52:
	v_bfe_u32 v9, v11, 20, 1
	v_add_co_u32_e64 v9, s[0:1], v11, v9
	v_add_co_u32_e64 v12, s[0:1], -1, v9
; %bb.53:
	s_or_b64 exec, exec, s[12:13]
	v_add_u32_e32 v3, 0xffffff81, v3
	v_mov_b32_e32 v9, 0xffffff82
	v_cndmask_b32_e32 v3, v3, v9, vcc
	v_lshrrev_b32_e32 v9, 23, v11
	v_add3_u32 v13, v7, v3, v9
	v_add_u32_e32 v7, 7, v13
	v_and_b32_e32 v3, 0xfffff, v12
	v_add_u32_e32 v9, v3, v11
	v_cmp_ne_u32_e32 vcc, 0, v7
                                        ; implicit-def: $vgpr3
	s_and_saveexec_b64 s[0:1], vcc
	s_xor_b64 s[0:1], exec, s[0:1]
; %bb.54:
	s_mov_b64 s[12:13], 0xffffff
	v_cmp_lt_u64_e32 vcc, s[12:13], v[9:10]
	v_add_u32_e32 v3, 8, v13
	v_cndmask_b32_e32 v3, v7, v3, vcc
	v_cndmask_b32_e64 v7, 0, 1, vcc
	v_lshrrev_b64 v[9:10], v7, v[9:10]
; %bb.55:
	s_andn2_saveexec_b64 s[0:1], s[0:1]
; %bb.56:
	v_bfe_u32 v3, v9, 23, 1
; %bb.57:
	s_or_b64 exec, exec, s[0:1]
	v_lshrrev_b64 v[9:10], 20, v[9:10]
	v_cmp_gt_i32_e32 vcc, 16, v3
	s_movk_i32 s0, 0x80
	v_min_i32_e32 v11, 15, v3
	v_cndmask_b32_e32 v10, 0, v10, vcc
	v_cndmask_b32_e32 v9, 7, v9, vcc
	v_and_b32_sdwa v7, v14, s0 dst_sel:DWORD dst_unused:UNUSED_PAD src0_sel:BYTE_3 src1_sel:DWORD
	v_cmp_eq_u32_e32 vcc, 0, v3
	v_cmp_eq_u64_e64 s[0:1], 0, v[9:10]
	v_lshlrev_b32_e32 v3, 3, v11
	v_and_b32_e32 v9, 7, v9
	v_and_b32_e32 v3, 0xf8, v3
	v_or3_b32 v3, v3, v7, v9
	s_and_b64 s[0:1], vcc, s[0:1]
	v_cndmask_b32_e64 v3, v3, 0, s[0:1]
.LBB0_58:
	s_or_b64 exec, exec, s[10:11]
                                        ; implicit-def: $vgpr14
.LBB0_59:
	s_andn2_saveexec_b64 s[0:1], s[6:7]
; %bb.60:
	s_movk_i32 s6, 0x7f
	v_or_b32_sdwa v3, v14, s6 dst_sel:DWORD dst_unused:UNUSED_PAD src0_sel:BYTE_3 src1_sel:DWORD
; %bb.61:
	s_or_b64 exec, exec, s[0:1]
.LBB0_62:
	s_or_b64 exec, exec, s[4:5]
	v_lshlrev_b32_e32 v10, 16, v5
	v_and_b32_e32 v7, 0x7f800000, v10
	v_cmp_ne_u64_e32 vcc, s[2:3], v[7:8]
	s_and_saveexec_b64 s[2:3], vcc
	s_cbranch_execz .LBB0_76
; %bb.63:
	v_and_b32_e32 v5, 0x7fffffff, v10
	v_mov_b32_e32 v6, 0
	s_mov_b64 s[0:1], 0x43700001
	v_cmp_gt_u64_e32 vcc, s[0:1], v[5:6]
	s_and_saveexec_b64 s[0:1], vcc
	s_xor_b64 s[4:5], exec, s[0:1]
	s_cbranch_execz .LBB0_73
; %bb.64:
	v_cmp_ne_u32_e32 vcc, 0, v10
	s_and_saveexec_b64 s[6:7], vcc
	s_cbranch_execz .LBB0_72
; %bb.65:
	v_bfe_u32 v11, v10, 23, 8
	s_movk_i32 s0, 0x79
	v_sub_u32_e32 v6, 0x78, v11
	v_cmp_gt_u32_e32 vcc, s0, v11
	v_cndmask_b32_e32 v6, 0, v6, vcc
	v_mov_b32_e32 v8, 0x77
	v_cmp_eq_u32_e32 vcc, 0, v11
	v_and_b32_e32 v5, 0x7fffff, v10
	v_cndmask_b32_e32 v12, v6, v8, vcc
	v_or_b32_e32 v7, 0x800000, v5
	v_add_u32_e32 v6, 20, v12
	v_cndmask_b32_e32 v5, v7, v5, vcc
	v_lshlrev_b64 v[7:8], v6, -1
	v_mov_b32_e32 v6, 0
	v_bfi_b32 v13, v7, 0, v5
	v_add_u32_e32 v7, 19, v12
	v_bfi_b32 v14, v8, 0, 0
	v_lshlrev_b64 v[16:17], v7, 1
	v_lshrrev_b64 v[7:8], v12, v[5:6]
	v_cmp_eq_u64_e64 s[0:1], v[13:14], v[16:17]
	v_mov_b32_e32 v9, v8
	v_mov_b32_e32 v8, v7
	s_and_saveexec_b64 s[10:11], s[0:1]
; %bb.66:
	v_bfe_u32 v5, v7, 20, 1
	v_add_co_u32_e64 v5, s[0:1], v7, v5
	v_add_co_u32_e64 v8, s[0:1], -1, v5
; %bb.67:
	s_or_b64 exec, exec, s[10:11]
	v_add_u32_e32 v5, 0xffffff81, v11
	v_mov_b32_e32 v9, 0xffffff82
	v_cndmask_b32_e32 v5, v5, v9, vcc
	v_lshrrev_b32_e32 v9, 23, v7
	v_add3_u32 v11, v12, v5, v9
	v_add_u32_e32 v9, 7, v11
	v_and_b32_e32 v5, 0xfffff, v8
	v_add_u32_e32 v5, v5, v7
	v_cmp_ne_u32_e32 vcc, 0, v9
                                        ; implicit-def: $vgpr7
	s_and_saveexec_b64 s[0:1], vcc
	s_xor_b64 s[0:1], exec, s[0:1]
; %bb.68:
	s_mov_b64 s[10:11], 0xffffff
	v_cmp_lt_u64_e32 vcc, s[10:11], v[5:6]
	v_add_u32_e32 v7, 8, v11
	v_cndmask_b32_e64 v8, 0, 1, vcc
	v_cndmask_b32_e32 v7, v9, v7, vcc
	v_lshrrev_b64 v[5:6], v8, v[5:6]
; %bb.69:
	s_andn2_saveexec_b64 s[0:1], s[0:1]
; %bb.70:
	v_bfe_u32 v7, v5, 23, 1
; %bb.71:
	s_or_b64 exec, exec, s[0:1]
	v_lshrrev_b64 v[5:6], 20, v[5:6]
	v_cmp_gt_i32_e32 vcc, 16, v7
	s_movk_i32 s0, 0x80
	v_min_i32_e32 v9, 15, v7
	v_cndmask_b32_e32 v6, 0, v6, vcc
	v_cndmask_b32_e32 v5, 7, v5, vcc
	v_and_b32_sdwa v8, v10, s0 dst_sel:DWORD dst_unused:UNUSED_PAD src0_sel:BYTE_3 src1_sel:DWORD
	v_cmp_eq_u64_e64 s[0:1], 0, v[5:6]
	v_lshlrev_b32_e32 v6, 3, v9
	v_cmp_eq_u32_e32 vcc, 0, v7
	v_and_b32_e32 v5, 7, v5
	v_and_b32_e32 v6, 0xf8, v6
	v_or3_b32 v5, v6, v8, v5
	s_and_b64 s[0:1], vcc, s[0:1]
	v_cndmask_b32_e64 v6, v5, 0, s[0:1]
.LBB0_72:
	s_or_b64 exec, exec, s[6:7]
                                        ; implicit-def: $vgpr10
.LBB0_73:
	s_andn2_saveexec_b64 s[0:1], s[4:5]
; %bb.74:
	s_movk_i32 s4, 0x7f
	v_or_b32_sdwa v6, v10, s4 dst_sel:DWORD dst_unused:UNUSED_PAD src0_sel:BYTE_3 src1_sel:DWORD
; %bb.75:
	s_or_b64 exec, exec, s[0:1]
.LBB0_76:
	s_or_b64 exec, exec, s[2:3]
	v_mad_u32_u24 v1, v1, 3, v2
	v_mad_u64_u32 v[0:1], s[0:1], s17, v1, v[0:1]
	v_lshlrev_b32_e32 v3, 24, v3
	v_lshlrev_b32_e32 v5, 16, v6
	v_lshl_or_b32 v1, v15, 8, v4
	v_or3_b32 v2, v1, v3, v5
	v_mov_b32_e32 v1, 0
	s_add_u32 s2, s8, s16
	v_lshlrev_b64 v[0:1], 2, v[0:1]
	s_addc_u32 s3, s9, 0
	v_mov_b32_e32 v3, s3
	v_add_co_u32_e32 v0, vcc, s2, v0
	v_addc_co_u32_e32 v1, vcc, v3, v1, vcc
	global_store_dword v[0:1], v2, off
	s_endpgm
.LBB0_77:
	s_movk_i32 s4, 0x80
	v_cmp_eq_u16_sdwa s[10:11], v5, s4 src0_sel:BYTE_0 src1_sel:DWORD
	s_mov_b64 s[4:5], -1
	s_and_saveexec_b64 s[6:7], s[10:11]
; %bb.78:
	s_xor_b64 s[4:5], exec, -1
; %bb.79:
	s_or_b64 exec, exec, s[6:7]
	s_and_b64 s[4:5], s[4:5], exec
	s_or_saveexec_b64 s[2:3], s[2:3]
	v_mov_b32_e32 v14, 0x7fc0
	s_xor_b64 exec, exec, s[2:3]
	s_cbranch_execz .LBB0_10
.LBB0_80:
	v_mov_b32_e32 v14, 0
	v_cmp_ne_u16_sdwa s[6:7], v5, v14 src0_sel:BYTE_0 src1_sel:DWORD
	s_andn2_b64 s[4:5], s[4:5], exec
	s_and_b64 s[6:7], s[6:7], exec
	s_or_b64 s[4:5], s[4:5], s[6:7]
	s_or_b64 exec, exec, s[2:3]
	s_and_saveexec_b64 s[2:3], s[4:5]
	s_cbranch_execnz .LBB0_11
	s_branch .LBB0_12
.LBB0_81:
	s_movk_i32 s2, 0x80
	v_cmp_eq_u16_e32 vcc, s2, v6
	s_mov_b64 s[2:3], -1
	s_and_saveexec_b64 s[6:7], vcc
; %bb.82:
	s_xor_b64 s[2:3], exec, -1
; %bb.83:
	s_or_b64 exec, exec, s[6:7]
	s_and_b64 s[2:3], s[2:3], exec
                                        ; implicit-def: $vgpr6
	s_or_saveexec_b64 s[4:5], s[4:5]
	v_mov_b32_e32 v7, 0x7fc0
	s_xor_b64 exec, exec, s[4:5]
	s_cbranch_execz .LBB0_14
.LBB0_84:
	v_cmp_ne_u16_e32 vcc, 0, v6
	s_andn2_b64 s[2:3], s[2:3], exec
	s_and_b64 s[6:7], vcc, exec
	v_mov_b32_e32 v7, 0
	s_or_b64 s[2:3], s[2:3], s[6:7]
	s_or_b64 exec, exec, s[4:5]
	s_and_saveexec_b64 s[4:5], s[2:3]
	s_cbranch_execnz .LBB0_15
	s_branch .LBB0_16
.LBB0_85:
	s_movk_i32 s4, 0x80
	v_cmp_eq_u16_sdwa s[10:11], v4, s4 src0_sel:BYTE_3 src1_sel:DWORD
	s_mov_b64 s[4:5], -1
	s_and_saveexec_b64 s[6:7], s[10:11]
; %bb.86:
	s_xor_b64 s[4:5], exec, -1
; %bb.87:
	s_or_b64 exec, exec, s[6:7]
	s_and_b64 s[4:5], s[4:5], exec
	s_or_saveexec_b64 s[2:3], s[2:3]
	v_mov_b32_e32 v8, 0x7fc0
	s_xor_b64 exec, exec, s[2:3]
	s_cbranch_execz .LBB0_18
.LBB0_88:
	v_mov_b32_e32 v8, 0
	v_cmp_ne_u16_sdwa s[6:7], v4, v8 src0_sel:BYTE_3 src1_sel:DWORD
	s_andn2_b64 s[4:5], s[4:5], exec
	s_and_b64 s[6:7], s[6:7], exec
	s_or_b64 s[4:5], s[4:5], s[6:7]
	s_or_b64 exec, exec, s[2:3]
	s_and_saveexec_b64 s[2:3], s[4:5]
	s_cbranch_execnz .LBB0_19
	s_branch .LBB0_20
	.section	.rodata,"a",@progbits
	.p2align	6, 0x0
	.amdhsa_kernel _Z22FP8TrtAddQKVBiasKernel21FP8TrtAddQKVBiasParamI19__hip_fp8_e4m3_fnuz14__hip_bfloat16E
		.amdhsa_group_segment_fixed_size 0
		.amdhsa_private_segment_fixed_size 0
		.amdhsa_kernarg_size 56
		.amdhsa_user_sgpr_count 6
		.amdhsa_user_sgpr_private_segment_buffer 1
		.amdhsa_user_sgpr_dispatch_ptr 0
		.amdhsa_user_sgpr_queue_ptr 0
		.amdhsa_user_sgpr_kernarg_segment_ptr 1
		.amdhsa_user_sgpr_dispatch_id 0
		.amdhsa_user_sgpr_flat_scratch_init 0
		.amdhsa_user_sgpr_private_segment_size 0
		.amdhsa_uses_dynamic_stack 0
		.amdhsa_system_sgpr_private_segment_wavefront_offset 0
		.amdhsa_system_sgpr_workgroup_id_x 1
		.amdhsa_system_sgpr_workgroup_id_y 0
		.amdhsa_system_sgpr_workgroup_id_z 0
		.amdhsa_system_sgpr_workgroup_info 0
		.amdhsa_system_vgpr_workitem_id 2
		.amdhsa_next_free_vgpr 21
		.amdhsa_next_free_sgpr 18
		.amdhsa_reserve_vcc 1
		.amdhsa_reserve_flat_scratch 0
		.amdhsa_float_round_mode_32 0
		.amdhsa_float_round_mode_16_64 0
		.amdhsa_float_denorm_mode_32 3
		.amdhsa_float_denorm_mode_16_64 3
		.amdhsa_dx10_clamp 1
		.amdhsa_ieee_mode 1
		.amdhsa_fp16_overflow 0
		.amdhsa_exception_fp_ieee_invalid_op 0
		.amdhsa_exception_fp_denorm_src 0
		.amdhsa_exception_fp_ieee_div_zero 0
		.amdhsa_exception_fp_ieee_overflow 0
		.amdhsa_exception_fp_ieee_underflow 0
		.amdhsa_exception_fp_ieee_inexact 0
		.amdhsa_exception_int_div_zero 0
	.end_amdhsa_kernel
	.text
.Lfunc_end0:
	.size	_Z22FP8TrtAddQKVBiasKernel21FP8TrtAddQKVBiasParamI19__hip_fp8_e4m3_fnuz14__hip_bfloat16E, .Lfunc_end0-_Z22FP8TrtAddQKVBiasKernel21FP8TrtAddQKVBiasParamI19__hip_fp8_e4m3_fnuz14__hip_bfloat16E
                                        ; -- End function
	.set _Z22FP8TrtAddQKVBiasKernel21FP8TrtAddQKVBiasParamI19__hip_fp8_e4m3_fnuz14__hip_bfloat16E.num_vgpr, 21
	.set _Z22FP8TrtAddQKVBiasKernel21FP8TrtAddQKVBiasParamI19__hip_fp8_e4m3_fnuz14__hip_bfloat16E.num_agpr, 0
	.set _Z22FP8TrtAddQKVBiasKernel21FP8TrtAddQKVBiasParamI19__hip_fp8_e4m3_fnuz14__hip_bfloat16E.numbered_sgpr, 18
	.set _Z22FP8TrtAddQKVBiasKernel21FP8TrtAddQKVBiasParamI19__hip_fp8_e4m3_fnuz14__hip_bfloat16E.num_named_barrier, 0
	.set _Z22FP8TrtAddQKVBiasKernel21FP8TrtAddQKVBiasParamI19__hip_fp8_e4m3_fnuz14__hip_bfloat16E.private_seg_size, 0
	.set _Z22FP8TrtAddQKVBiasKernel21FP8TrtAddQKVBiasParamI19__hip_fp8_e4m3_fnuz14__hip_bfloat16E.uses_vcc, 1
	.set _Z22FP8TrtAddQKVBiasKernel21FP8TrtAddQKVBiasParamI19__hip_fp8_e4m3_fnuz14__hip_bfloat16E.uses_flat_scratch, 0
	.set _Z22FP8TrtAddQKVBiasKernel21FP8TrtAddQKVBiasParamI19__hip_fp8_e4m3_fnuz14__hip_bfloat16E.has_dyn_sized_stack, 0
	.set _Z22FP8TrtAddQKVBiasKernel21FP8TrtAddQKVBiasParamI19__hip_fp8_e4m3_fnuz14__hip_bfloat16E.has_recursion, 0
	.set _Z22FP8TrtAddQKVBiasKernel21FP8TrtAddQKVBiasParamI19__hip_fp8_e4m3_fnuz14__hip_bfloat16E.has_indirect_call, 0
	.section	.AMDGPU.csdata,"",@progbits
; Kernel info:
; codeLenInByte = 3848
; TotalNumSgprs: 22
; NumVgprs: 21
; ScratchSize: 0
; MemoryBound: 0
; FloatMode: 240
; IeeeMode: 1
; LDSByteSize: 0 bytes/workgroup (compile time only)
; SGPRBlocks: 2
; VGPRBlocks: 5
; NumSGPRsForWavesPerEU: 22
; NumVGPRsForWavesPerEU: 21
; Occupancy: 10
; WaveLimiterHint : 0
; COMPUTE_PGM_RSRC2:SCRATCH_EN: 0
; COMPUTE_PGM_RSRC2:USER_SGPR: 6
; COMPUTE_PGM_RSRC2:TRAP_HANDLER: 0
; COMPUTE_PGM_RSRC2:TGID_X_EN: 1
; COMPUTE_PGM_RSRC2:TGID_Y_EN: 0
; COMPUTE_PGM_RSRC2:TGID_Z_EN: 0
; COMPUTE_PGM_RSRC2:TIDIG_COMP_CNT: 2
	.section	.AMDGPU.gpr_maximums,"",@progbits
	.set amdgpu.max_num_vgpr, 0
	.set amdgpu.max_num_agpr, 0
	.set amdgpu.max_num_sgpr, 0
	.section	.AMDGPU.csdata,"",@progbits
	.type	__hip_cuid_ac9e38c6895ad098,@object ; @__hip_cuid_ac9e38c6895ad098
	.section	.bss,"aw",@nobits
	.globl	__hip_cuid_ac9e38c6895ad098
__hip_cuid_ac9e38c6895ad098:
	.byte	0                               ; 0x0
	.size	__hip_cuid_ac9e38c6895ad098, 1

	.ident	"AMD clang version 22.0.0git (https://github.com/RadeonOpenCompute/llvm-project roc-7.2.4 26084 f58b06dce1f9c15707c5f808fd002e18c2accf7e)"
	.section	".note.GNU-stack","",@progbits
	.addrsig
	.addrsig_sym __hip_cuid_ac9e38c6895ad098
	.amdgpu_metadata
---
amdhsa.kernels:
  - .args:
      - .offset:         0
        .size:           56
        .value_kind:     by_value
    .group_segment_fixed_size: 0
    .kernarg_segment_align: 8
    .kernarg_segment_size: 56
    .language:       OpenCL C
    .language_version:
      - 2
      - 0
    .max_flat_workgroup_size: 1024
    .name:           _Z22FP8TrtAddQKVBiasKernel21FP8TrtAddQKVBiasParamI19__hip_fp8_e4m3_fnuz14__hip_bfloat16E
    .private_segment_fixed_size: 0
    .sgpr_count:     22
    .sgpr_spill_count: 0
    .symbol:         _Z22FP8TrtAddQKVBiasKernel21FP8TrtAddQKVBiasParamI19__hip_fp8_e4m3_fnuz14__hip_bfloat16E.kd
    .uniform_work_group_size: 1
    .uses_dynamic_stack: false
    .vgpr_count:     21
    .vgpr_spill_count: 0
    .wavefront_size: 64
amdhsa.target:   amdgcn-amd-amdhsa--gfx906
amdhsa.version:
  - 1
  - 2
...

	.end_amdgpu_metadata
